;; amdgpu-corpus repo=ROCm/rocFFT kind=compiled arch=gfx906 opt=O3
	.text
	.amdgcn_target "amdgcn-amd-amdhsa--gfx906"
	.amdhsa_code_object_version 6
	.protected	fft_rtc_back_len864_factors_3_6_16_3_wgs_54_tpt_54_halfLds_sp_op_CI_CI_unitstride_sbrr_C2R_dirReg ; -- Begin function fft_rtc_back_len864_factors_3_6_16_3_wgs_54_tpt_54_halfLds_sp_op_CI_CI_unitstride_sbrr_C2R_dirReg
	.globl	fft_rtc_back_len864_factors_3_6_16_3_wgs_54_tpt_54_halfLds_sp_op_CI_CI_unitstride_sbrr_C2R_dirReg
	.p2align	8
	.type	fft_rtc_back_len864_factors_3_6_16_3_wgs_54_tpt_54_halfLds_sp_op_CI_CI_unitstride_sbrr_C2R_dirReg,@function
fft_rtc_back_len864_factors_3_6_16_3_wgs_54_tpt_54_halfLds_sp_op_CI_CI_unitstride_sbrr_C2R_dirReg: ; @fft_rtc_back_len864_factors_3_6_16_3_wgs_54_tpt_54_halfLds_sp_op_CI_CI_unitstride_sbrr_C2R_dirReg
; %bb.0:
	s_load_dwordx4 s[8:11], s[4:5], 0x58
	s_load_dwordx4 s[12:15], s[4:5], 0x0
	;; [unrolled: 1-line block ×3, first 2 shown]
	v_mul_u32_u24_e32 v1, 0x4be, v0
	v_add_u32_sdwa v5, s6, v1 dst_sel:DWORD dst_unused:UNUSED_PAD src0_sel:DWORD src1_sel:WORD_1
	v_mov_b32_e32 v3, 0
	s_waitcnt lgkmcnt(0)
	v_cmp_lt_u64_e64 s[0:1], s[14:15], 2
	v_mov_b32_e32 v1, 0
	v_mov_b32_e32 v6, v3
	s_and_b64 vcc, exec, s[0:1]
	v_mov_b32_e32 v2, 0
	s_cbranch_vccnz .LBB0_8
; %bb.1:
	s_load_dwordx2 s[0:1], s[4:5], 0x10
	s_add_u32 s2, s18, 8
	s_addc_u32 s3, s19, 0
	s_add_u32 s6, s16, 8
	v_mov_b32_e32 v1, 0
	s_addc_u32 s7, s17, 0
	v_mov_b32_e32 v2, 0
	s_waitcnt lgkmcnt(0)
	s_add_u32 s20, s0, 8
	v_mov_b32_e32 v37, v2
	s_addc_u32 s21, s1, 0
	s_mov_b64 s[22:23], 1
	v_mov_b32_e32 v36, v1
.LBB0_2:                                ; =>This Inner Loop Header: Depth=1
	s_load_dwordx2 s[24:25], s[20:21], 0x0
                                        ; implicit-def: $vgpr40_vgpr41
	s_waitcnt lgkmcnt(0)
	v_or_b32_e32 v4, s25, v6
	v_cmp_ne_u64_e32 vcc, 0, v[3:4]
	s_and_saveexec_b64 s[0:1], vcc
	s_xor_b64 s[26:27], exec, s[0:1]
	s_cbranch_execz .LBB0_4
; %bb.3:                                ;   in Loop: Header=BB0_2 Depth=1
	v_cvt_f32_u32_e32 v4, s24
	v_cvt_f32_u32_e32 v7, s25
	s_sub_u32 s0, 0, s24
	s_subb_u32 s1, 0, s25
	v_mac_f32_e32 v4, 0x4f800000, v7
	v_rcp_f32_e32 v4, v4
	v_mul_f32_e32 v4, 0x5f7ffffc, v4
	v_mul_f32_e32 v7, 0x2f800000, v4
	v_trunc_f32_e32 v7, v7
	v_mac_f32_e32 v4, 0xcf800000, v7
	v_cvt_u32_f32_e32 v7, v7
	v_cvt_u32_f32_e32 v4, v4
	v_mul_lo_u32 v8, s0, v7
	v_mul_hi_u32 v9, s0, v4
	v_mul_lo_u32 v11, s1, v4
	v_mul_lo_u32 v10, s0, v4
	v_add_u32_e32 v8, v9, v8
	v_add_u32_e32 v8, v8, v11
	v_mul_hi_u32 v9, v4, v10
	v_mul_lo_u32 v11, v4, v8
	v_mul_hi_u32 v13, v4, v8
	v_mul_hi_u32 v12, v7, v10
	v_mul_lo_u32 v10, v7, v10
	v_mul_hi_u32 v14, v7, v8
	v_add_co_u32_e32 v9, vcc, v9, v11
	v_addc_co_u32_e32 v11, vcc, 0, v13, vcc
	v_mul_lo_u32 v8, v7, v8
	v_add_co_u32_e32 v9, vcc, v9, v10
	v_addc_co_u32_e32 v9, vcc, v11, v12, vcc
	v_addc_co_u32_e32 v10, vcc, 0, v14, vcc
	v_add_co_u32_e32 v8, vcc, v9, v8
	v_addc_co_u32_e32 v9, vcc, 0, v10, vcc
	v_add_co_u32_e32 v4, vcc, v4, v8
	v_addc_co_u32_e32 v7, vcc, v7, v9, vcc
	v_mul_lo_u32 v8, s0, v7
	v_mul_hi_u32 v9, s0, v4
	v_mul_lo_u32 v10, s1, v4
	v_mul_lo_u32 v11, s0, v4
	v_add_u32_e32 v8, v9, v8
	v_add_u32_e32 v8, v8, v10
	v_mul_lo_u32 v12, v4, v8
	v_mul_hi_u32 v13, v4, v11
	v_mul_hi_u32 v14, v4, v8
	v_mul_hi_u32 v10, v7, v11
	v_mul_lo_u32 v11, v7, v11
	v_mul_hi_u32 v9, v7, v8
	v_add_co_u32_e32 v12, vcc, v13, v12
	v_addc_co_u32_e32 v13, vcc, 0, v14, vcc
	v_mul_lo_u32 v8, v7, v8
	v_add_co_u32_e32 v11, vcc, v12, v11
	v_addc_co_u32_e32 v10, vcc, v13, v10, vcc
	v_addc_co_u32_e32 v9, vcc, 0, v9, vcc
	v_add_co_u32_e32 v8, vcc, v10, v8
	v_addc_co_u32_e32 v9, vcc, 0, v9, vcc
	v_add_co_u32_e32 v4, vcc, v4, v8
	v_addc_co_u32_e32 v9, vcc, v7, v9, vcc
	v_mad_u64_u32 v[7:8], s[0:1], v5, v9, 0
	v_mul_hi_u32 v10, v5, v4
	v_add_co_u32_e32 v11, vcc, v10, v7
	v_addc_co_u32_e32 v12, vcc, 0, v8, vcc
	v_mad_u64_u32 v[7:8], s[0:1], v6, v4, 0
	v_mad_u64_u32 v[9:10], s[0:1], v6, v9, 0
	v_add_co_u32_e32 v4, vcc, v11, v7
	v_addc_co_u32_e32 v4, vcc, v12, v8, vcc
	v_addc_co_u32_e32 v7, vcc, 0, v10, vcc
	v_add_co_u32_e32 v4, vcc, v4, v9
	v_addc_co_u32_e32 v9, vcc, 0, v7, vcc
	v_mul_lo_u32 v10, s25, v4
	v_mul_lo_u32 v11, s24, v9
	v_mad_u64_u32 v[7:8], s[0:1], s24, v4, 0
	v_add3_u32 v8, v8, v11, v10
	v_sub_u32_e32 v10, v6, v8
	v_mov_b32_e32 v11, s25
	v_sub_co_u32_e32 v7, vcc, v5, v7
	v_subb_co_u32_e64 v10, s[0:1], v10, v11, vcc
	v_subrev_co_u32_e64 v11, s[0:1], s24, v7
	v_subbrev_co_u32_e64 v10, s[0:1], 0, v10, s[0:1]
	v_cmp_le_u32_e64 s[0:1], s25, v10
	v_cndmask_b32_e64 v12, 0, -1, s[0:1]
	v_cmp_le_u32_e64 s[0:1], s24, v11
	v_cndmask_b32_e64 v11, 0, -1, s[0:1]
	v_cmp_eq_u32_e64 s[0:1], s25, v10
	v_cndmask_b32_e64 v10, v12, v11, s[0:1]
	v_add_co_u32_e64 v11, s[0:1], 2, v4
	v_addc_co_u32_e64 v12, s[0:1], 0, v9, s[0:1]
	v_add_co_u32_e64 v13, s[0:1], 1, v4
	v_addc_co_u32_e64 v14, s[0:1], 0, v9, s[0:1]
	v_subb_co_u32_e32 v8, vcc, v6, v8, vcc
	v_cmp_ne_u32_e64 s[0:1], 0, v10
	v_cmp_le_u32_e32 vcc, s25, v8
	v_cndmask_b32_e64 v10, v14, v12, s[0:1]
	v_cndmask_b32_e64 v12, 0, -1, vcc
	v_cmp_le_u32_e32 vcc, s24, v7
	v_cndmask_b32_e64 v7, 0, -1, vcc
	v_cmp_eq_u32_e32 vcc, s25, v8
	v_cndmask_b32_e32 v7, v12, v7, vcc
	v_cmp_ne_u32_e32 vcc, 0, v7
	v_cndmask_b32_e64 v7, v13, v11, s[0:1]
	v_cndmask_b32_e32 v41, v9, v10, vcc
	v_cndmask_b32_e32 v40, v4, v7, vcc
.LBB0_4:                                ;   in Loop: Header=BB0_2 Depth=1
	s_andn2_saveexec_b64 s[0:1], s[26:27]
	s_cbranch_execz .LBB0_6
; %bb.5:                                ;   in Loop: Header=BB0_2 Depth=1
	v_cvt_f32_u32_e32 v4, s24
	s_sub_i32 s26, 0, s24
	v_mov_b32_e32 v41, v3
	v_rcp_iflag_f32_e32 v4, v4
	v_mul_f32_e32 v4, 0x4f7ffffe, v4
	v_cvt_u32_f32_e32 v4, v4
	v_mul_lo_u32 v7, s26, v4
	v_mul_hi_u32 v7, v4, v7
	v_add_u32_e32 v4, v4, v7
	v_mul_hi_u32 v4, v5, v4
	v_mul_lo_u32 v7, v4, s24
	v_add_u32_e32 v8, 1, v4
	v_sub_u32_e32 v7, v5, v7
	v_subrev_u32_e32 v9, s24, v7
	v_cmp_le_u32_e32 vcc, s24, v7
	v_cndmask_b32_e32 v7, v7, v9, vcc
	v_cndmask_b32_e32 v4, v4, v8, vcc
	v_add_u32_e32 v8, 1, v4
	v_cmp_le_u32_e32 vcc, s24, v7
	v_cndmask_b32_e32 v40, v4, v8, vcc
.LBB0_6:                                ;   in Loop: Header=BB0_2 Depth=1
	s_or_b64 exec, exec, s[0:1]
	v_mul_lo_u32 v4, v41, s24
	v_mul_lo_u32 v9, v40, s25
	v_mad_u64_u32 v[7:8], s[0:1], v40, s24, 0
	s_load_dwordx2 s[0:1], s[6:7], 0x0
	s_load_dwordx2 s[24:25], s[2:3], 0x0
	v_add3_u32 v4, v8, v9, v4
	v_sub_co_u32_e32 v5, vcc, v5, v7
	v_subb_co_u32_e32 v4, vcc, v6, v4, vcc
	s_waitcnt lgkmcnt(0)
	v_mul_lo_u32 v6, s0, v4
	v_mul_lo_u32 v7, s1, v5
	v_mad_u64_u32 v[1:2], s[0:1], s0, v5, v[1:2]
	v_mul_lo_u32 v4, s24, v4
	v_mul_lo_u32 v8, s25, v5
	v_mad_u64_u32 v[36:37], s[0:1], s24, v5, v[36:37]
	s_add_u32 s22, s22, 1
	s_addc_u32 s23, s23, 0
	s_add_u32 s2, s2, 8
	v_add3_u32 v37, v8, v37, v4
	s_addc_u32 s3, s3, 0
	v_mov_b32_e32 v4, s14
	s_add_u32 s6, s6, 8
	v_mov_b32_e32 v5, s15
	s_addc_u32 s7, s7, 0
	v_cmp_ge_u64_e32 vcc, s[22:23], v[4:5]
	s_add_u32 s20, s20, 8
	v_add3_u32 v2, v7, v2, v6
	s_addc_u32 s21, s21, 0
	s_cbranch_vccnz .LBB0_9
; %bb.7:                                ;   in Loop: Header=BB0_2 Depth=1
	v_mov_b32_e32 v5, v40
	v_mov_b32_e32 v6, v41
	s_branch .LBB0_2
.LBB0_8:
	v_mov_b32_e32 v37, v2
	v_mov_b32_e32 v41, v6
	;; [unrolled: 1-line block ×4, first 2 shown]
.LBB0_9:
	s_load_dwordx2 s[2:3], s[4:5], 0x28
	s_lshl_b64 s[6:7], s[14:15], 3
	s_add_u32 s4, s18, s6
	s_addc_u32 s5, s19, s7
                                        ; implicit-def: $vgpr38
	s_waitcnt lgkmcnt(0)
	v_cmp_gt_u64_e64 s[0:1], s[2:3], v[40:41]
	v_cmp_le_u64_e32 vcc, s[2:3], v[40:41]
	s_and_saveexec_b64 s[2:3], vcc
	s_xor_b64 s[2:3], exec, s[2:3]
; %bb.10:
	s_mov_b32 s14, 0x4bda130
	v_mul_hi_u32 v1, v0, s14
	v_mul_u32_u24_e32 v1, 54, v1
	v_sub_u32_e32 v38, v0, v1
                                        ; implicit-def: $vgpr0
                                        ; implicit-def: $vgpr1_vgpr2
; %bb.11:
	s_or_saveexec_b64 s[2:3], s[2:3]
	s_load_dwordx2 s[4:5], s[4:5], 0x0
	s_xor_b64 exec, exec, s[2:3]
	s_cbranch_execz .LBB0_15
; %bb.12:
	s_add_u32 s6, s16, s6
	s_addc_u32 s7, s17, s7
	s_load_dwordx2 s[6:7], s[6:7], 0x0
	s_mov_b32 s14, 0x4bda130
	v_mul_hi_u32 v5, v0, s14
	v_lshlrev_b64 v[1:2], 3, v[1:2]
	s_waitcnt lgkmcnt(0)
	v_mul_lo_u32 v6, s7, v40
	v_mul_lo_u32 v7, s6, v41
	v_mad_u64_u32 v[3:4], s[6:7], s6, v40, 0
	v_mul_u32_u24_e32 v5, 54, v5
	v_sub_u32_e32 v38, v0, v5
	v_add3_u32 v4, v4, v7, v6
	v_lshlrev_b64 v[3:4], 3, v[3:4]
	v_mov_b32_e32 v0, s9
	v_add_co_u32_e32 v3, vcc, s8, v3
	v_addc_co_u32_e32 v0, vcc, v0, v4, vcc
	v_add_co_u32_e32 v1, vcc, v3, v1
	v_addc_co_u32_e32 v0, vcc, v0, v2, vcc
	v_lshlrev_b32_e32 v39, 3, v38
	v_add_co_u32_e32 v2, vcc, v1, v39
	v_addc_co_u32_e32 v3, vcc, 0, v0, vcc
	s_movk_i32 s6, 0x1000
	v_add_co_u32_e32 v20, vcc, s6, v2
	global_load_dwordx2 v[4:5], v[2:3], off
	global_load_dwordx2 v[6:7], v[2:3], off offset:432
	global_load_dwordx2 v[8:9], v[2:3], off offset:864
	;; [unrolled: 1-line block ×7, first 2 shown]
	v_addc_co_u32_e32 v21, vcc, 0, v3, vcc
	global_load_dwordx2 v[22:23], v[2:3], off offset:3456
	global_load_dwordx2 v[24:25], v[2:3], off offset:3888
	;; [unrolled: 1-line block ×8, first 2 shown]
	v_add_u32_e32 v2, 0, v39
	v_cmp_eq_u32_e32 vcc, 53, v38
	v_add_u32_e32 v3, 0x400, v2
	v_add_u32_e32 v20, 0x800, v2
	;; [unrolled: 1-line block ×4, first 2 shown]
	s_waitcnt vmcnt(14)
	ds_write2_b64 v2, v[4:5], v[6:7] offset1:54
	s_waitcnt vmcnt(12)
	ds_write2_b64 v2, v[8:9], v[10:11] offset0:108 offset1:162
	s_waitcnt vmcnt(10)
	ds_write2_b64 v3, v[12:13], v[14:15] offset0:88 offset1:142
	;; [unrolled: 2-line block ×7, first 2 shown]
	s_and_saveexec_b64 s[6:7], vcc
	s_cbranch_execz .LBB0_14
; %bb.13:
	v_add_co_u32_e32 v1, vcc, 0x1000, v1
	v_addc_co_u32_e32 v2, vcc, 0, v0, vcc
	global_load_dwordx2 v[0:1], v[1:2], off offset:2816
	v_mov_b32_e32 v2, 0
	v_mov_b32_e32 v38, 53
	s_waitcnt vmcnt(0)
	ds_write_b64 v2, v[0:1] offset:6912
.LBB0_14:
	s_or_b64 exec, exec, s[6:7]
.LBB0_15:
	s_or_b64 exec, exec, s[2:3]
	v_lshlrev_b32_e32 v0, 3, v38
	v_add_u32_e32 v44, 0, v0
	s_waitcnt lgkmcnt(0)
	; wave barrier
	s_waitcnt lgkmcnt(0)
	v_sub_u32_e32 v4, 0, v0
	ds_read_b32 v5, v44
	ds_read_b32 v6, v4 offset:6912
	s_add_u32 s6, s12, 0x1ae8
	s_addc_u32 s7, s13, 0
	v_cmp_ne_u32_e32 vcc, 0, v38
                                        ; implicit-def: $vgpr2_vgpr3
	s_waitcnt lgkmcnt(0)
	v_add_f32_e32 v0, v6, v5
	v_sub_f32_e32 v1, v5, v6
	s_and_saveexec_b64 s[2:3], vcc
	s_xor_b64 s[2:3], exec, s[2:3]
	s_cbranch_execz .LBB0_17
; %bb.16:
	v_mov_b32_e32 v39, 0
	v_lshlrev_b64 v[0:1], 3, v[38:39]
	v_mov_b32_e32 v2, s7
	v_add_co_u32_e32 v0, vcc, s6, v0
	v_addc_co_u32_e32 v1, vcc, v2, v1, vcc
	global_load_dwordx2 v[2:3], v[0:1], off
	ds_read_b32 v0, v4 offset:6916
	ds_read_b32 v1, v44 offset:4
	v_add_f32_e32 v7, v6, v5
	v_sub_f32_e32 v8, v5, v6
	s_waitcnt lgkmcnt(0)
	v_add_f32_e32 v9, v0, v1
	v_sub_f32_e32 v0, v1, v0
	s_waitcnt vmcnt(0)
	v_fma_f32 v10, v8, v3, v7
	v_fma_f32 v1, v9, v3, v0
	v_fma_f32 v5, -v8, v3, v7
	v_fma_f32 v6, v9, v3, -v0
	v_fma_f32 v0, -v2, v9, v10
	v_fmac_f32_e32 v1, v8, v2
	v_fmac_f32_e32 v5, v2, v9
	;; [unrolled: 1-line block ×3, first 2 shown]
	v_mov_b32_e32 v2, v38
	ds_write_b64 v4, v[5:6] offset:6912
	v_mov_b32_e32 v3, v39
.LBB0_17:
	s_andn2_saveexec_b64 s[2:3], s[2:3]
	s_cbranch_execz .LBB0_19
; %bb.18:
	v_mov_b32_e32 v7, 0
	ds_read_b64 v[2:3], v7 offset:3456
	s_waitcnt lgkmcnt(0)
	v_add_f32_e32 v5, v2, v2
	v_mul_f32_e32 v6, -2.0, v3
	v_mov_b32_e32 v2, 0
	v_mov_b32_e32 v3, 0
	ds_write_b64 v7, v[5:6] offset:3456
.LBB0_19:
	s_or_b64 exec, exec, s[2:3]
	v_lshlrev_b64 v[2:3], 3, v[2:3]
	v_mov_b32_e32 v5, s7
	v_add_co_u32_e32 v2, vcc, s6, v2
	v_addc_co_u32_e32 v3, vcc, v5, v3, vcc
	global_load_dwordx2 v[5:6], v[2:3], off offset:432
	global_load_dwordx2 v[7:8], v[2:3], off offset:864
	;; [unrolled: 1-line block ×4, first 2 shown]
	ds_write_b64 v44, v[0:1]
	ds_read_b64 v[0:1], v44 offset:432
	ds_read_b64 v[13:14], v4 offset:6480
	global_load_dwordx2 v[15:16], v[2:3], off offset:2160
	v_add_u32_e32 v22, 0x1800, v44
	v_cmp_gt_u32_e32 vcc, 18, v38
	s_waitcnt lgkmcnt(0)
	v_add_f32_e32 v17, v0, v13
	v_add_f32_e32 v18, v14, v1
	v_sub_f32_e32 v19, v0, v13
	v_sub_f32_e32 v13, v1, v14
	s_waitcnt vmcnt(4)
	v_fma_f32 v20, v19, v6, v17
	v_fma_f32 v14, v18, v6, v13
	v_fma_f32 v0, -v19, v6, v17
	v_fma_f32 v1, v18, v6, -v13
	v_fma_f32 v13, -v5, v18, v20
	v_fmac_f32_e32 v14, v19, v5
	v_fmac_f32_e32 v0, v5, v18
	;; [unrolled: 1-line block ×3, first 2 shown]
	ds_write_b64 v44, v[13:14] offset:432
	ds_write_b64 v4, v[0:1] offset:6480
	ds_read_b64 v[0:1], v44 offset:864
	ds_read_b64 v[5:6], v4 offset:6048
	global_load_dwordx2 v[13:14], v[2:3], off offset:2592
	s_waitcnt lgkmcnt(0)
	v_add_f32_e32 v17, v0, v5
	v_add_f32_e32 v18, v6, v1
	v_sub_f32_e32 v19, v0, v5
	v_sub_f32_e32 v0, v1, v6
	s_waitcnt vmcnt(4)
	v_fma_f32 v20, v19, v8, v17
	v_fma_f32 v1, v18, v8, v0
	v_fma_f32 v5, -v19, v8, v17
	v_fma_f32 v6, v18, v8, -v0
	v_fma_f32 v0, -v7, v18, v20
	v_fmac_f32_e32 v1, v19, v7
	v_fmac_f32_e32 v5, v7, v18
	;; [unrolled: 1-line block ×3, first 2 shown]
	ds_write_b64 v44, v[0:1] offset:864
	ds_write_b64 v4, v[5:6] offset:6048
	ds_read_b64 v[0:1], v44 offset:1296
	ds_read_b64 v[5:6], v4 offset:5616
	global_load_dwordx2 v[2:3], v[2:3], off offset:3024
	s_waitcnt lgkmcnt(0)
	v_add_f32_e32 v7, v0, v5
	v_add_f32_e32 v8, v6, v1
	v_sub_f32_e32 v17, v0, v5
	v_sub_f32_e32 v0, v1, v6
	s_waitcnt vmcnt(4)
	v_fma_f32 v18, v17, v10, v7
	v_fma_f32 v1, v8, v10, v0
	v_fma_f32 v5, -v17, v10, v7
	v_fma_f32 v6, v8, v10, -v0
	v_fma_f32 v0, -v9, v8, v18
	v_fmac_f32_e32 v1, v17, v9
	v_fmac_f32_e32 v5, v9, v8
	;; [unrolled: 1-line block ×3, first 2 shown]
	ds_write_b64 v44, v[0:1] offset:1296
	ds_write_b64 v4, v[5:6] offset:5616
	ds_read_b64 v[0:1], v44 offset:1728
	ds_read_b64 v[5:6], v4 offset:5184
	v_add_u32_e32 v17, 0x1000, v44
	s_waitcnt lgkmcnt(0)
	v_add_f32_e32 v7, v0, v5
	v_add_f32_e32 v8, v6, v1
	v_sub_f32_e32 v9, v0, v5
	v_sub_f32_e32 v0, v1, v6
	s_waitcnt vmcnt(3)
	v_fma_f32 v10, v9, v12, v7
	v_fma_f32 v1, v8, v12, v0
	v_fma_f32 v5, -v9, v12, v7
	v_fma_f32 v6, v8, v12, -v0
	v_fma_f32 v0, -v11, v8, v10
	v_fmac_f32_e32 v1, v9, v11
	v_fmac_f32_e32 v5, v11, v8
	;; [unrolled: 1-line block ×3, first 2 shown]
	ds_write_b64 v44, v[0:1] offset:1728
	ds_write_b64 v4, v[5:6] offset:5184
	ds_read_b64 v[0:1], v44 offset:2160
	ds_read_b64 v[5:6], v4 offset:4752
	s_waitcnt lgkmcnt(0)
	v_add_f32_e32 v7, v0, v5
	v_add_f32_e32 v8, v6, v1
	v_sub_f32_e32 v9, v0, v5
	v_sub_f32_e32 v0, v1, v6
	s_waitcnt vmcnt(2)
	v_fma_f32 v10, v9, v16, v7
	v_fma_f32 v1, v8, v16, v0
	v_fma_f32 v5, -v9, v16, v7
	v_fma_f32 v6, v8, v16, -v0
	v_fma_f32 v0, -v15, v8, v10
	v_fmac_f32_e32 v1, v9, v15
	v_fmac_f32_e32 v5, v15, v8
	;; [unrolled: 1-line block ×3, first 2 shown]
	ds_write_b64 v44, v[0:1] offset:2160
	ds_write_b64 v4, v[5:6] offset:4752
	ds_read_b64 v[0:1], v44 offset:2592
	ds_read_b64 v[5:6], v4 offset:4320
	v_add_u32_e32 v16, 0x800, v44
	s_waitcnt lgkmcnt(0)
	v_add_f32_e32 v7, v0, v5
	v_add_f32_e32 v8, v6, v1
	v_sub_f32_e32 v9, v0, v5
	v_sub_f32_e32 v0, v1, v6
	s_waitcnt vmcnt(1)
	v_fma_f32 v10, v9, v14, v7
	v_fma_f32 v1, v8, v14, v0
	v_fma_f32 v5, -v9, v14, v7
	v_fma_f32 v6, v8, v14, -v0
	v_fma_f32 v0, -v13, v8, v10
	v_fmac_f32_e32 v1, v9, v13
	v_fmac_f32_e32 v5, v13, v8
	;; [unrolled: 1-line block ×3, first 2 shown]
	ds_write_b64 v44, v[0:1] offset:2592
	ds_write_b64 v4, v[5:6] offset:4320
	ds_read_b64 v[0:1], v44 offset:3024
	ds_read_b64 v[5:6], v4 offset:3888
	s_waitcnt lgkmcnt(0)
	v_add_f32_e32 v7, v0, v5
	v_add_f32_e32 v8, v6, v1
	v_sub_f32_e32 v9, v0, v5
	v_sub_f32_e32 v0, v1, v6
	s_waitcnt vmcnt(0)
	v_fma_f32 v10, v9, v3, v7
	v_fma_f32 v1, v8, v3, v0
	v_fma_f32 v5, -v9, v3, v7
	v_fma_f32 v6, v8, v3, -v0
	v_fma_f32 v0, -v2, v8, v10
	v_fmac_f32_e32 v1, v9, v2
	v_fmac_f32_e32 v5, v2, v8
	;; [unrolled: 1-line block ×3, first 2 shown]
	ds_write_b64 v44, v[0:1] offset:3024
	ds_write_b64 v4, v[5:6] offset:3888
	s_waitcnt lgkmcnt(0)
	; wave barrier
	s_waitcnt lgkmcnt(0)
	s_waitcnt lgkmcnt(0)
	; wave barrier
	s_waitcnt lgkmcnt(0)
	ds_read2_b64 v[0:3], v44 offset0:108 offset1:162
	ds_read2_b64 v[4:7], v16 offset0:140 offset1:194
	;; [unrolled: 1-line block ×3, first 2 shown]
	s_waitcnt lgkmcnt(1)
	v_add_f32_e32 v13, v0, v4
	s_waitcnt lgkmcnt(0)
	v_add_f32_e32 v8, v4, v9
	v_sub_f32_e32 v49, v4, v9
	v_add_f32_e32 v4, v6, v11
	v_sub_f32_e32 v39, v5, v10
	v_add_f32_e32 v14, v1, v5
	v_add_f32_e32 v5, v5, v10
	;; [unrolled: 1-line block ×3, first 2 shown]
	v_sub_f32_e32 v50, v7, v12
	v_add_f32_e32 v51, v3, v7
	v_add_f32_e32 v7, v7, v12
	v_fma_f32 v2, -0.5, v4, v2
	v_add_u32_e32 v4, 0x400, v44
	v_sub_f32_e32 v52, v6, v11
	v_fma_f32 v0, -0.5, v8, v0
	v_fma_f32 v1, -0.5, v5, v1
	v_fmac_f32_e32 v3, -0.5, v7
	v_add_u32_e32 v8, 0xc00, v44
	ds_read2_b64 v[4:7], v4 offset0:88 offset1:142
	ds_read2_b64 v[18:21], v8 offset0:120 offset1:174
	;; [unrolled: 1-line block ×3, first 2 shown]
	ds_read2_b64 v[26:29], v44 offset1:54
	ds_read2_b64 v[30:33], v16 offset0:32 offset1:86
	ds_read2_b64 v[45:48], v17 offset0:64 offset1:118
	v_lshl_add_u32 v8, v38, 4, v44
	v_mov_b32_e32 v34, v0
	v_fmac_f32_e32 v0, 0x3f5db3d7, v39
	v_mov_b32_e32 v35, v1
	v_fmac_f32_e32 v1, 0xbf5db3d7, v49
	;; [unrolled: 2-line block ×4, first 2 shown]
	v_add_u32_e32 v53, 0x800, v8
	s_waitcnt lgkmcnt(0)
	; wave barrier
	s_waitcnt lgkmcnt(0)
	ds_write2_b64 v53, v[0:1], v[2:3] offset0:70 offset1:232
	v_add_f32_e32 v0, v30, v45
	v_add_f32_e32 v1, v31, v46
	;; [unrolled: 1-line block ×5, first 2 shown]
	v_sub_f32_e32 v54, v31, v46
	v_add_f32_e32 v55, v27, v31
	v_sub_f32_e32 v56, v30, v45
	v_add_f32_e32 v30, v28, v32
	;; [unrolled: 2-line block ×3, first 2 shown]
	v_sub_f32_e32 v32, v32, v47
	v_fma_f32 v0, -0.5, v0, v26
	v_fma_f32 v1, -0.5, v1, v27
	;; [unrolled: 1-line block ×3, first 2 shown]
	v_fmac_f32_e32 v29, -0.5, v3
	v_mov_b32_e32 v2, v0
	v_fmac_f32_e32 v0, 0x3f5db3d7, v54
	v_mov_b32_e32 v3, v1
	v_fmac_f32_e32 v1, 0xbf5db3d7, v56
	v_mov_b32_e32 v26, v28
	v_fmac_f32_e32 v28, 0x3f5db3d7, v57
	v_mov_b32_e32 v27, v29
	v_fmac_f32_e32 v29, 0xbf5db3d7, v32
	ds_write2_b64 v8, v[0:1], v[28:29] offset0:2 offset1:164
	v_add_f32_e32 v0, v4, v18
	v_add_f32_e32 v9, v13, v9
	;; [unrolled: 1-line block ×4, first 2 shown]
	v_sub_f32_e32 v18, v18, v22
	v_add_f32_e32 v0, v0, v22
	v_fmac_f32_e32 v34, 0xbf5db3d7, v39
	v_fmac_f32_e32 v35, 0x3f5db3d7, v49
	v_add_u32_e32 v22, 0xa20, v8
	v_add_f32_e32 v11, v15, v11
	v_add_f32_e32 v12, v51, v12
	ds_write2_b64 v22, v[9:10], v[34:35] offset1:1
	v_fmac_f32_e32 v42, 0xbf5db3d7, v50
	v_fmac_f32_e32 v43, 0x3f5db3d7, v52
	v_add_u32_e32 v9, 0xf30, v8
	v_add_f32_e32 v28, v53, v45
	v_add_f32_e32 v29, v55, v46
	v_sub_f32_e32 v33, v19, v23
	v_add_f32_e32 v1, v5, v19
	v_add_f32_e32 v19, v19, v23
	;; [unrolled: 1-line block ×3, first 2 shown]
	v_sub_f32_e32 v46, v21, v25
	v_add_f32_e32 v15, v7, v21
	v_add_f32_e32 v21, v21, v25
	ds_write2_b64 v9, v[11:12], v[42:43] offset1:1
	v_fmac_f32_e32 v2, 0xbf5db3d7, v54
	v_fmac_f32_e32 v3, 0x3f5db3d7, v56
	v_fma_f32 v12, -0.5, v13, v4
	v_add_f32_e32 v14, v6, v20
	ds_write2_b64 v8, v[28:29], v[2:3] offset1:1
	v_mov_b32_e32 v2, v12
	v_fma_f32 v13, -0.5, v19, v5
	v_fma_f32 v6, -0.5, v45, v6
	v_fmac_f32_e32 v7, -0.5, v21
	v_add_f32_e32 v30, v30, v47
	v_add_f32_e32 v31, v31, v48
	v_sub_f32_e32 v20, v20, v24
	v_add_f32_e32 v1, v1, v23
	v_fmac_f32_e32 v26, 0xbf5db3d7, v57
	v_fmac_f32_e32 v27, 0x3f5db3d7, v32
	;; [unrolled: 1-line block ×3, first 2 shown]
	v_mov_b32_e32 v3, v13
	v_mov_b32_e32 v4, v6
	v_mov_b32_e32 v5, v7
	v_add_u32_e32 v9, 0x1444, v8
	v_add_f32_e32 v14, v14, v24
	v_add_f32_e32 v15, v15, v25
	ds_write2_b64 v8, v[30:31], v[26:27] offset0:162 offset1:163
	v_fmac_f32_e32 v12, 0x3f5db3d7, v33
	v_fmac_f32_e32 v3, 0x3f5db3d7, v18
	;; [unrolled: 1-line block ×7, first 2 shown]
	ds_write_b32 v8, v0 offset:5184
	ds_write2_b32 v9, v1, v2 offset1:1
	v_add_u32_e32 v9, 0x144c, v8
	ds_write2_b32 v9, v3, v12 offset1:1
	ds_write_b32 v8, v13 offset:5204
	s_and_saveexec_b64 s[2:3], vcc
	s_cbranch_execz .LBB0_21
; %bb.20:
	v_add_u32_e32 v9, 0x1950, v8
	ds_write2_b64 v9, v[14:15], v[4:5] offset1:1
	ds_write_b64 v8, v[6:7] offset:6496
.LBB0_21:
	s_or_b64 exec, exec, s[2:3]
	s_waitcnt lgkmcnt(0)
	; wave barrier
	s_waitcnt lgkmcnt(0)
	ds_read2_b64 v[8:11], v44 offset1:54
	ds_read2_b64 v[32:35], v44 offset0:144 offset1:198
	ds_read2_b64 v[28:31], v16 offset0:32 offset1:86
	;; [unrolled: 1-line block ×4, first 2 shown]
	v_add_u32_e32 v39, 0x1400, v44
	ds_read2_b64 v[16:19], v39 offset0:80 offset1:134
	v_cmp_gt_u32_e64 s[2:3], 36, v38
	s_and_saveexec_b64 s[6:7], s[2:3]
	s_cbranch_execz .LBB0_23
; %bb.22:
	v_add_u32_e32 v0, 0xc00, v44
	ds_read2_b64 v[4:7], v39 offset0:44 offset1:188
	ds_read2_b64 v[12:15], v0 offset0:12 offset1:156
	;; [unrolled: 1-line block ×3, first 2 shown]
.LBB0_23:
	s_or_b64 exec, exec, s[6:7]
	s_movk_i32 s6, 0xab
	v_mul_lo_u16_sdwa v39, v38, s6 dst_sel:DWORD dst_unused:UNUSED_PAD src0_sel:BYTE_0 src1_sel:DWORD
	v_lshrrev_b16_e32 v60, 9, v39
	v_mul_lo_u16_e32 v39, 3, v60
	v_sub_u16_e32 v61, v38, v39
	v_mov_b32_e32 v42, 5
	v_mul_u32_u24_sdwa v39, v61, v42 dst_sel:DWORD dst_unused:UNUSED_PAD src0_sel:BYTE_0 src1_sel:DWORD
	v_lshlrev_b32_e32 v43, 3, v39
	global_load_dwordx4 v[45:48], v43, s[12:13]
	v_add_u32_e32 v39, 54, v38
	v_mul_lo_u16_sdwa v49, v39, s6 dst_sel:DWORD dst_unused:UNUSED_PAD src0_sel:BYTE_0 src1_sel:DWORD
	v_lshrrev_b16_e32 v62, 9, v49
	global_load_dwordx4 v[49:52], v43, s[12:13] offset:16
	s_waitcnt vmcnt(1) lgkmcnt(3)
	v_mul_f32_e32 v54, v48, v29
	v_mul_f32_e32 v48, v48, v28
	v_fmac_f32_e32 v54, v47, v28
	v_mul_lo_u16_e32 v28, 3, v62
	v_sub_u16_e32 v63, v39, v28
	v_mul_f32_e32 v53, v46, v33
	v_mul_f32_e32 v46, v46, v32
	v_mul_u32_u24_sdwa v28, v63, v42 dst_sel:DWORD dst_unused:UNUSED_PAD src0_sel:BYTE_0 src1_sel:DWORD
	v_fmac_f32_e32 v53, v45, v32
	v_fma_f32 v55, v45, v33, -v46
	v_fma_f32 v56, v47, v29, -v48
	v_lshlrev_b32_e32 v57, 3, v28
	global_load_dwordx2 v[32:33], v43, s[12:13] offset:32
	global_load_dwordx4 v[45:48], v57, s[12:13]
	s_waitcnt vmcnt(2) lgkmcnt(1)
	v_mul_f32_e32 v29, v52, v20
	s_waitcnt vmcnt(0)
	v_mul_f32_e32 v28, v46, v34
	v_mul_f32_e32 v58, v46, v35
	v_fma_f32 v59, v45, v35, -v28
	v_mul_f32_e32 v28, v48, v30
	v_fmac_f32_e32 v58, v45, v34
	v_mul_f32_e32 v64, v48, v31
	v_fma_f32 v48, v47, v31, -v28
	v_mul_f32_e32 v34, v50, v25
	v_mul_f32_e32 v28, v50, v24
	v_fmac_f32_e32 v64, v47, v30
	v_fmac_f32_e32 v34, v49, v24
	v_fma_f32 v43, v49, v25, -v28
	v_fma_f32 v46, v51, v21, -v29
	global_load_dwordx4 v[28:31], v57, s[12:13] offset:16
	global_load_dwordx2 v[24:25], v57, s[12:13] offset:32
	v_mul_f32_e32 v35, v52, v21
	v_fmac_f32_e32 v35, v51, v20
	v_add_u32_e32 v45, 0x6c, v38
	s_waitcnt vmcnt(1)
	v_mul_f32_e32 v20, v29, v26
	v_fma_f32 v50, v28, v27, -v20
	v_mul_f32_e32 v51, v23, v31
	v_mul_f32_e32 v20, v22, v31
	v_fmac_f32_e32 v51, v22, v30
	v_fma_f32 v30, v23, v30, -v20
	v_mul_lo_u16_sdwa v20, v45, s6 dst_sel:DWORD dst_unused:UNUSED_PAD src0_sel:BYTE_0 src1_sel:DWORD
	v_lshrrev_b16_e32 v20, 9, v20
	v_mul_lo_u16_e32 v21, 3, v20
	v_sub_u16_e32 v21, v45, v21
	v_mul_u32_u24_sdwa v22, v21, v42 dst_sel:DWORD dst_unused:UNUSED_PAD src0_sel:BYTE_0 src1_sel:DWORD
	v_mul_f32_e32 v49, v29, v27
	v_lshlrev_b32_e32 v31, 3, v22
	s_waitcnt lgkmcnt(0)
	v_mul_f32_e32 v42, v33, v17
	v_mul_f32_e32 v22, v33, v16
	s_waitcnt vmcnt(0)
	v_mul_f32_e32 v52, v19, v25
	v_mul_f32_e32 v23, v18, v25
	v_fmac_f32_e32 v49, v28, v26
	v_fmac_f32_e32 v42, v32, v16
	v_fma_f32 v32, v32, v17, -v22
	v_fmac_f32_e32 v52, v18, v24
	v_fma_f32 v57, v19, v24, -v23
	global_load_dwordx4 v[22:25], v31, s[12:13]
	global_load_dwordx4 v[26:29], v31, s[12:13] offset:16
	global_load_dwordx2 v[18:19], v31, s[12:13] offset:32
	s_waitcnt lgkmcnt(0)
	; wave barrier
	s_waitcnt vmcnt(2)
	v_mul_f32_e32 v16, v13, v25
	v_fmac_f32_e32 v16, v12, v24
	v_mul_f32_e32 v12, v12, v25
	v_mul_f32_e32 v17, v2, v23
	v_fma_f32 v13, v13, v24, -v12
	v_mul_f32_e32 v12, v3, v23
	v_fma_f32 v3, v3, v22, -v17
	s_waitcnt vmcnt(1)
	v_mul_f32_e32 v17, v5, v29
	v_mul_f32_e32 v23, v4, v29
	v_fmac_f32_e32 v12, v2, v22
	v_mul_f32_e32 v2, v15, v27
	v_fmac_f32_e32 v17, v4, v28
	v_fma_f32 v4, v5, v28, -v23
	s_waitcnt vmcnt(0)
	v_mul_f32_e32 v5, v6, v19
	v_mul_f32_e32 v22, v14, v27
	v_fmac_f32_e32 v2, v14, v26
	v_mul_f32_e32 v14, v7, v19
	v_fma_f32 v5, v7, v18, -v5
	v_add_f32_e32 v7, v54, v35
	v_fma_f32 v7, -0.5, v7, v8
	v_fmac_f32_e32 v14, v6, v18
	v_add_f32_e32 v6, v8, v54
	v_sub_f32_e32 v8, v56, v46
	v_mov_b32_e32 v18, v7
	v_add_f32_e32 v19, v56, v46
	v_fmac_f32_e32 v18, 0xbf5db3d7, v8
	v_fmac_f32_e32 v7, 0x3f5db3d7, v8
	v_add_f32_e32 v8, v9, v56
	v_fma_f32 v9, -0.5, v19, v9
	v_fma_f32 v15, v15, v26, -v22
	v_sub_f32_e32 v19, v54, v35
	v_mov_b32_e32 v22, v9
	v_add_f32_e32 v23, v34, v42
	v_fmac_f32_e32 v22, 0x3f5db3d7, v19
	v_fmac_f32_e32 v9, 0xbf5db3d7, v19
	v_add_f32_e32 v19, v53, v34
	v_fmac_f32_e32 v53, -0.5, v23
	v_sub_f32_e32 v23, v43, v32
	v_mov_b32_e32 v26, v53
	v_fmac_f32_e32 v26, 0xbf5db3d7, v23
	v_fmac_f32_e32 v53, 0x3f5db3d7, v23
	v_add_f32_e32 v23, v55, v43
	v_add_f32_e32 v27, v23, v32
	;; [unrolled: 1-line block ×3, first 2 shown]
	v_fmac_f32_e32 v55, -0.5, v23
	v_sub_f32_e32 v23, v34, v42
	v_mov_b32_e32 v28, v55
	v_fmac_f32_e32 v55, 0xbf5db3d7, v23
	v_mul_f32_e32 v31, 0xbf5db3d7, v55
	v_fmac_f32_e32 v31, -0.5, v53
	v_add_f32_e32 v8, v8, v46
	v_add_f32_e32 v32, v7, v31
	v_mul_f32_e32 v47, -0.5, v55
	v_sub_f32_e32 v46, v7, v31
	v_add_f32_e32 v7, v64, v51
	v_add_f32_e32 v6, v6, v35
	;; [unrolled: 1-line block ×3, first 2 shown]
	v_fmac_f32_e32 v28, 0x3f5db3d7, v23
	v_fmac_f32_e32 v47, 0x3f5db3d7, v53
	v_fma_f32 v7, -0.5, v7, v10
	v_add_f32_e32 v23, v6, v19
	v_mul_f32_e32 v29, 0xbf5db3d7, v28
	v_add_f32_e32 v24, v8, v27
	v_add_f32_e32 v33, v9, v47
	v_sub_f32_e32 v34, v6, v19
	v_sub_f32_e32 v35, v8, v27
	;; [unrolled: 1-line block ×3, first 2 shown]
	v_add_f32_e32 v6, v10, v64
	v_sub_f32_e32 v8, v48, v30
	v_mov_b32_e32 v9, v7
	v_add_f32_e32 v10, v48, v30
	v_fmac_f32_e32 v29, 0.5, v26
	v_fmac_f32_e32 v9, 0xbf5db3d7, v8
	v_fmac_f32_e32 v7, 0x3f5db3d7, v8
	v_add_f32_e32 v8, v11, v48
	v_fmac_f32_e32 v11, -0.5, v10
	v_add_f32_e32 v25, v18, v29
	v_mul_f32_e32 v28, 0.5, v28
	v_sub_f32_e32 v42, v18, v29
	v_sub_f32_e32 v10, v64, v51
	v_mov_b32_e32 v18, v11
	v_add_f32_e32 v19, v49, v52
	v_fmac_f32_e32 v28, 0x3f5db3d7, v26
	v_fmac_f32_e32 v18, 0x3f5db3d7, v10
	;; [unrolled: 1-line block ×3, first 2 shown]
	v_add_f32_e32 v10, v58, v49
	v_fmac_f32_e32 v58, -0.5, v19
	v_add_f32_e32 v26, v22, v28
	v_sub_f32_e32 v43, v22, v28
	v_sub_f32_e32 v19, v50, v57
	v_mov_b32_e32 v22, v58
	v_add_f32_e32 v27, v50, v57
	v_fmac_f32_e32 v22, 0xbf5db3d7, v19
	v_fmac_f32_e32 v58, 0x3f5db3d7, v19
	v_add_f32_e32 v19, v59, v50
	v_fmac_f32_e32 v59, -0.5, v27
	v_sub_f32_e32 v27, v49, v52
	v_mov_b32_e32 v28, v59
	v_add_f32_e32 v6, v6, v51
	v_add_f32_e32 v10, v10, v52
	v_fmac_f32_e32 v28, 0x3f5db3d7, v27
	v_fmac_f32_e32 v59, 0xbf5db3d7, v27
	v_add_f32_e32 v48, v6, v10
	v_mul_f32_e32 v27, 0xbf5db3d7, v28
	v_mul_f32_e32 v29, 0xbf5db3d7, v59
	v_mul_f32_e32 v28, 0.5, v28
	v_sub_f32_e32 v54, v6, v10
	v_add_f32_e32 v6, v16, v17
	v_add_f32_e32 v8, v8, v30
	;; [unrolled: 1-line block ×3, first 2 shown]
	v_fmac_f32_e32 v27, 0.5, v22
	v_fmac_f32_e32 v29, -0.5, v58
	v_fmac_f32_e32 v28, 0x3f5db3d7, v22
	v_mul_f32_e32 v22, -0.5, v59
	v_fma_f32 v6, -0.5, v6, v0
	v_add_f32_e32 v52, v7, v29
	v_add_f32_e32 v49, v8, v19
	v_fmac_f32_e32 v22, 0x3f5db3d7, v58
	v_sub_f32_e32 v58, v7, v29
	v_sub_f32_e32 v55, v8, v19
	;; [unrolled: 1-line block ×3, first 2 shown]
	v_mov_b32_e32 v7, v6
	v_fmac_f32_e32 v7, 0xbf5db3d7, v8
	v_fmac_f32_e32 v6, 0x3f5db3d7, v8
	v_add_f32_e32 v8, v13, v4
	v_fma_f32 v8, -0.5, v8, v1
	v_add_f32_e32 v50, v9, v27
	v_sub_f32_e32 v56, v9, v27
	v_sub_f32_e32 v10, v16, v17
	v_mov_b32_e32 v9, v8
	v_fmac_f32_e32 v9, 0x3f5db3d7, v10
	v_fmac_f32_e32 v8, 0xbf5db3d7, v10
	v_add_f32_e32 v10, v2, v14
	v_add_f32_e32 v53, v11, v22
	v_sub_f32_e32 v59, v11, v22
	v_fma_f32 v22, -0.5, v10, v12
	v_sub_f32_e32 v10, v15, v5
	v_mov_b32_e32 v19, v22
	v_fmac_f32_e32 v19, 0xbf5db3d7, v10
	v_fmac_f32_e32 v22, 0x3f5db3d7, v10
	v_add_f32_e32 v10, v15, v5
	v_fma_f32 v27, -0.5, v10, v3
	v_add_f32_e32 v51, v18, v28
	v_sub_f32_e32 v57, v18, v28
	v_sub_f32_e32 v10, v2, v14
	v_mov_b32_e32 v18, v27
	v_fmac_f32_e32 v18, 0x3f5db3d7, v10
	v_fmac_f32_e32 v27, 0xbf5db3d7, v10
	v_mul_f32_e32 v10, 0xbf5db3d7, v18
	v_mul_f32_e32 v18, 0.5, v18
	v_fmac_f32_e32 v10, 0.5, v19
	v_mul_f32_e32 v11, 0xbf5db3d7, v27
	v_fmac_f32_e32 v18, 0x3f5db3d7, v19
	v_mul_f32_e32 v19, -0.5, v27
	v_fmac_f32_e32 v11, -0.5, v22
	v_fmac_f32_e32 v19, 0x3f5db3d7, v22
	v_mov_b32_e32 v22, 3
	v_mul_u32_u24_e32 v27, 0x90, v60
	v_lshlrev_b32_sdwa v29, v22, v61 dst_sel:DWORD dst_unused:UNUSED_PAD src0_sel:DWORD src1_sel:BYTE_0
	v_add3_u32 v27, 0, v27, v29
	ds_write2_b64 v27, v[23:24], v[25:26] offset1:3
	ds_write2_b64 v27, v[32:33], v[34:35] offset0:6 offset1:9
	ds_write2_b64 v27, v[42:43], v[46:47] offset0:12 offset1:15
	v_mul_u32_u24_e32 v23, 0x90, v62
	v_lshlrev_b32_sdwa v24, v22, v63 dst_sel:DWORD dst_unused:UNUSED_PAD src0_sel:DWORD src1_sel:BYTE_0
	v_sub_f32_e32 v28, v7, v10
	v_sub_f32_e32 v30, v6, v11
	;; [unrolled: 1-line block ×4, first 2 shown]
	v_add3_u32 v23, 0, v23, v24
	ds_write2_b64 v23, v[48:49], v[50:51] offset1:3
	ds_write2_b64 v23, v[52:53], v[54:55] offset0:6 offset1:9
	ds_write2_b64 v23, v[56:57], v[58:59] offset0:12 offset1:15
	s_and_saveexec_b64 s[6:7], s[2:3]
	s_cbranch_execz .LBB0_25
; %bb.24:
	v_add_f32_e32 v1, v1, v13
	v_add_f32_e32 v0, v0, v16
	;; [unrolled: 1-line block ×10, first 2 shown]
	v_mul_u32_u24_e32 v6, 0x90, v20
	v_lshlrev_b32_sdwa v9, v22, v21 dst_sel:DWORD dst_unused:UNUSED_PAD src0_sel:DWORD src1_sel:BYTE_0
	v_sub_f32_e32 v1, v4, v13
	v_add_f32_e32 v3, v8, v19
	v_add_f32_e32 v8, v4, v13
	;; [unrolled: 1-line block ×4, first 2 shown]
	v_add3_u32 v6, 0, v6, v9
	v_sub_f32_e32 v0, v15, v12
	ds_write2_b64 v6, v[7:8], v[4:5] offset1:3
	ds_write2_b64 v6, v[2:3], v[0:1] offset0:6 offset1:9
	ds_write2_b64 v6, v[28:29], v[30:31] offset0:12 offset1:15
.LBB0_25:
	s_or_b64 exec, exec, s[6:7]
	v_mov_b32_e32 v0, 57
	v_mul_lo_u16_sdwa v0, v38, v0 dst_sel:DWORD dst_unused:UNUSED_PAD src0_sel:BYTE_0 src1_sel:DWORD
	v_lshrrev_b16_e32 v53, 10, v0
	v_mul_lo_u16_e32 v0, 18, v53
	v_sub_u16_e32 v54, v38, v0
	v_mov_b32_e32 v0, 15
	v_mul_u32_u24_sdwa v0, v54, v0 dst_sel:DWORD dst_unused:UNUSED_PAD src0_sel:BYTE_0 src1_sel:DWORD
	v_lshlrev_b32_e32 v32, 3, v0
	s_waitcnt lgkmcnt(0)
	; wave barrier
	s_waitcnt lgkmcnt(0)
	global_load_dwordx4 v[0:3], v32, s[12:13] offset:120
	global_load_dwordx4 v[4:7], v32, s[12:13] offset:136
	;; [unrolled: 1-line block ×7, first 2 shown]
	global_load_dwordx2 v[42:43], v32, s[12:13] offset:232
	ds_read2_b64 v[32:35], v44 offset1:54
	ds_read2_b64 v[49:52], v44 offset0:108 offset1:162
	v_add_u32_e32 v47, 0x400, v44
	v_add_u32_e32 v46, 0x800, v44
	;; [unrolled: 1-line block ×4, first 2 shown]
	s_waitcnt vmcnt(7) lgkmcnt(1)
	v_mul_f32_e32 v56, v1, v35
	v_mul_f32_e32 v1, v1, v34
	s_waitcnt lgkmcnt(0)
	v_mul_f32_e32 v57, v3, v50
	v_mul_f32_e32 v3, v3, v49
	v_fmac_f32_e32 v56, v0, v34
	v_fma_f32 v34, v0, v35, -v1
	v_fmac_f32_e32 v57, v2, v49
	v_fma_f32 v35, v2, v50, -v3
	ds_read2_b64 v[0:3], v47 offset0:88 offset1:142
	s_waitcnt vmcnt(6)
	v_mul_f32_e32 v49, v5, v52
	v_mul_f32_e32 v5, v5, v51
	v_fmac_f32_e32 v49, v4, v51
	v_fma_f32 v50, v4, v52, -v5
	s_waitcnt lgkmcnt(0)
	v_mul_f32_e32 v51, v7, v1
	v_mul_f32_e32 v4, v7, v0
	v_fmac_f32_e32 v51, v6, v0
	v_fma_f32 v52, v6, v1, -v4
	ds_read2_b64 v[4:7], v46 offset0:68 offset1:122
	s_waitcnt vmcnt(5)
	v_mul_f32_e32 v58, v3, v9
	v_mul_f32_e32 v0, v2, v9
	v_fmac_f32_e32 v58, v2, v8
	v_fma_f32 v8, v3, v8, -v0
	s_waitcnt lgkmcnt(0)
	v_mul_f32_e32 v9, v5, v11
	v_mul_f32_e32 v0, v4, v11
	;; [unrolled: 11-line block ×5, first 2 shown]
	v_fmac_f32_e32 v21, v0, v22
	v_fma_f32 v0, v1, v22, -v4
	ds_read2_b64 v[4:7], v55 offset0:116 offset1:170
	s_waitcnt vmcnt(1)
	v_mul_f32_e32 v1, v3, v25
	v_mul_f32_e32 v22, v2, v25
	v_fmac_f32_e32 v1, v2, v24
	v_fma_f32 v2, v3, v24, -v22
	s_waitcnt vmcnt(0) lgkmcnt(0)
	v_mul_f32_e32 v22, v7, v43
	v_mul_f32_e32 v23, v5, v27
	;; [unrolled: 1-line block ×4, first 2 shown]
	v_fmac_f32_e32 v22, v6, v42
	v_fmac_f32_e32 v23, v4, v26
	v_fma_f32 v3, v5, v26, -v3
	v_fma_f32 v4, v7, v42, -v24
	v_sub_f32_e32 v5, v32, v13
	v_sub_f32_e32 v6, v33, v14
	;; [unrolled: 1-line block ×8, first 2 shown]
	v_fma_f32 v7, v32, 2.0, -v5
	v_fma_f32 v13, v33, 2.0, -v6
	v_sub_f32_e32 v14, v51, v21
	v_fma_f32 v24, v52, 2.0, -v0
	v_sub_f32_e32 v17, v57, v17
	v_sub_f32_e32 v18, v35, v18
	;; [unrolled: 1-line block ×3, first 2 shown]
	v_fma_f32 v27, v56, 2.0, -v15
	v_fma_f32 v32, v34, 2.0, -v16
	v_sub_f32_e32 v2, v8, v2
	v_fma_f32 v33, v58, 2.0, -v1
	v_sub_f32_e32 v20, v50, v20
	v_fma_f32 v34, v49, 2.0, -v19
	v_sub_f32_e32 v4, v12, v4
	v_fma_f32 v11, v11, 2.0, -v22
	v_add_f32_e32 v0, v5, v0
	v_fma_f32 v21, v51, 2.0, -v14
	v_fma_f32 v26, v35, 2.0, -v18
	v_sub_f32_e32 v23, v9, v23
	v_fma_f32 v10, v10, 2.0, -v3
	v_fma_f32 v8, v8, 2.0, -v2
	;; [unrolled: 1-line block ×4, first 2 shown]
	v_add_f32_e32 v3, v17, v3
	v_sub_f32_e32 v33, v27, v33
	v_sub_f32_e32 v11, v34, v11
	v_mov_b32_e32 v51, v0
	v_fma_f32 v9, v9, 2.0, -v23
	v_sub_f32_e32 v14, v6, v14
	v_fma_f32 v5, v5, 2.0, -v0
	v_sub_f32_e32 v23, v18, v23
	v_sub_f32_e32 v8, v32, v8
	v_fma_f32 v27, v27, 2.0, -v33
	v_add_f32_e32 v2, v15, v2
	v_sub_f32_e32 v12, v35, v12
	v_fma_f32 v34, v34, 2.0, -v11
	v_fmac_f32_e32 v51, 0x3f3504f3, v3
	v_fma_f32 v25, v57, 2.0, -v17
	v_fma_f32 v6, v6, 2.0, -v14
	;; [unrolled: 1-line block ×4, first 2 shown]
	v_sub_f32_e32 v1, v16, v1
	v_fma_f32 v15, v15, 2.0, -v2
	v_fma_f32 v35, v35, 2.0, -v12
	v_add_f32_e32 v4, v19, v4
	v_mov_b32_e32 v42, v5
	v_mov_b32_e32 v52, v14
	v_fmac_f32_e32 v51, 0x3f3504f3, v23
	v_sub_f32_e32 v34, v27, v34
	v_fma_f32 v18, v18, 2.0, -v23
	v_fma_f32 v16, v16, 2.0, -v1
	v_sub_f32_e32 v22, v20, v22
	v_fma_f32 v19, v19, 2.0, -v4
	v_fmac_f32_e32 v42, 0xbf3504f3, v17
	v_mov_b32_e32 v43, v6
	v_fmac_f32_e32 v52, 0x3f3504f3, v23
	v_fma_f32 v23, v0, 2.0, -v51
	v_sub_f32_e32 v35, v32, v35
	v_fma_f32 v0, v27, 2.0, -v34
	v_mov_b32_e32 v27, v15
	v_sub_f32_e32 v24, v13, v24
	v_sub_f32_e32 v10, v26, v10
	v_fma_f32 v20, v20, 2.0, -v22
	v_fmac_f32_e32 v43, 0xbf3504f3, v18
	v_fmac_f32_e32 v42, 0x3f3504f3, v18
	v_fmac_f32_e32 v52, 0xbf3504f3, v3
	v_fma_f32 v3, v32, 2.0, -v35
	v_fmac_f32_e32 v27, 0xbf3504f3, v19
	v_mov_b32_e32 v32, v16
	v_mov_b32_e32 v58, v1
	v_sub_f32_e32 v21, v7, v21
	v_fma_f32 v13, v13, 2.0, -v24
	v_sub_f32_e32 v9, v25, v9
	v_fma_f32 v26, v26, 2.0, -v10
	v_fmac_f32_e32 v43, 0xbf3504f3, v17
	v_fma_f32 v17, v5, 2.0, -v42
	v_fmac_f32_e32 v32, 0xbf3504f3, v20
	v_fmac_f32_e32 v27, 0x3f3504f3, v20
	v_mov_b32_e32 v57, v2
	v_fmac_f32_e32 v58, 0x3f3504f3, v22
	v_sub_f32_e32 v26, v13, v26
	v_fma_f32 v18, v6, 2.0, -v43
	v_add_f32_e32 v49, v21, v10
	v_sub_f32_e32 v50, v24, v9
	v_fmac_f32_e32 v32, 0xbf3504f3, v19
	v_fma_f32 v6, v15, 2.0, -v27
	v_fmac_f32_e32 v57, 0x3f3504f3, v4
	v_fmac_f32_e32 v58, 0xbf3504f3, v4
	v_mov_b32_e32 v4, v17
	v_fma_f32 v7, v7, 2.0, -v21
	v_fma_f32 v25, v25, 2.0, -v9
	;; [unrolled: 1-line block ×6, first 2 shown]
	v_add_f32_e32 v55, v33, v12
	v_sub_f32_e32 v56, v8, v11
	v_fmac_f32_e32 v4, 0xbf6c835e, v6
	v_mov_b32_e32 v5, v18
	v_fma_f32 v24, v14, 2.0, -v52
	v_fma_f32 v11, v33, 2.0, -v55
	;; [unrolled: 1-line block ×4, first 2 shown]
	v_sub_f32_e32 v1, v13, v3
	v_fmac_f32_e32 v5, 0xbf6c835e, v9
	v_fmac_f32_e32 v4, 0x3ec3ef15, v9
	v_mov_b32_e32 v8, v10
	v_mov_b32_e32 v9, v21
	v_sub_f32_e32 v25, v7, v25
	v_fmac_f32_e32 v57, 0x3f3504f3, v22
	v_fma_f32 v3, v13, 2.0, -v1
	v_fmac_f32_e32 v8, 0xbf3504f3, v11
	v_fmac_f32_e32 v9, 0xbf3504f3, v12
	v_mov_b32_e32 v13, v24
	v_mov_b32_e32 v20, v42
	v_fma_f32 v7, v7, 2.0, -v25
	v_fma_f32 v14, v2, 2.0, -v57
	v_fmac_f32_e32 v8, 0x3f3504f3, v12
	v_fmac_f32_e32 v9, 0xbf3504f3, v11
	v_mov_b32_e32 v12, v23
	v_fmac_f32_e32 v13, 0xbec3ef15, v15
	v_fmac_f32_e32 v20, 0x3ec3ef15, v27
	v_sub_f32_e32 v0, v7, v0
	v_fmac_f32_e32 v5, 0xbec3ef15, v6
	v_fma_f32 v11, v21, 2.0, -v9
	v_fmac_f32_e32 v12, 0xbec3ef15, v14
	v_fmac_f32_e32 v13, 0xbf6c835e, v14
	v_add_f32_e32 v16, v25, v35
	v_mov_b32_e32 v21, v43
	v_fmac_f32_e32 v20, 0x3f6c835e, v32
	v_fma_f32 v2, v7, 2.0, -v0
	v_fma_f32 v7, v18, 2.0, -v5
	v_fmac_f32_e32 v12, 0x3f6c835e, v15
	v_fma_f32 v15, v24, 2.0, -v13
	v_fma_f32 v18, v25, 2.0, -v16
	v_fmac_f32_e32 v21, 0x3ec3ef15, v32
	v_fma_f32 v22, v42, 2.0, -v20
	v_mov_b32_e32 v24, v49
	v_mov_b32_e32 v25, v50
	v_mov_b32_e32 v32, v51
	v_mov_b32_e32 v33, v52
	v_mul_u32_u24_e32 v42, 0x120, v53
	v_fmac_f32_e32 v24, 0x3f3504f3, v55
	v_fmac_f32_e32 v25, 0x3f3504f3, v56
	;; [unrolled: 1-line block ×4, first 2 shown]
	v_or_b32_sdwa v42, v42, v54 dst_sel:DWORD dst_unused:UNUSED_PAD src0_sel:DWORD src1_sel:BYTE_0
	v_fma_f32 v6, v17, 2.0, -v4
	v_sub_f32_e32 v17, v26, v34
	v_fmac_f32_e32 v21, 0xbf6c835e, v27
	v_fmac_f32_e32 v24, 0x3f3504f3, v56
	;; [unrolled: 1-line block ×5, first 2 shown]
	v_lshl_add_u32 v42, v42, 3, 0
	v_fma_f32 v10, v10, 2.0, -v8
	v_fma_f32 v14, v23, 2.0, -v12
	;; [unrolled: 1-line block ×8, first 2 shown]
	s_waitcnt lgkmcnt(0)
	; wave barrier
	ds_write2_b64 v42, v[2:3], v[6:7] offset1:18
	ds_write2_b64 v42, v[10:11], v[14:15] offset0:36 offset1:54
	ds_write2_b64 v42, v[18:19], v[22:23] offset0:72 offset1:90
	;; [unrolled: 1-line block ×6, first 2 shown]
	v_add_u32_e32 v0, 0x400, v42
	ds_write2_b64 v0, v[24:25], v[32:33] offset0:124 offset1:142
	s_waitcnt lgkmcnt(0)
	; wave barrier
	s_waitcnt lgkmcnt(0)
	ds_read2_b64 v[8:11], v44 offset1:54
	ds_read2_b64 v[0:3], v47 offset0:88 offset1:160
	ds_read2_b64 v[24:27], v48 offset0:64 offset1:118
	;; [unrolled: 1-line block ×6, first 2 shown]
	ds_read_b64 v[42:43], v44 offset:6336
	s_and_saveexec_b64 s[2:3], vcc
	s_cbranch_execz .LBB0_27
; %bb.26:
	ds_read_b64 v[32:33], v44 offset:2160
	ds_read_b64 v[28:29], v44 offset:4464
	;; [unrolled: 1-line block ×3, first 2 shown]
.LBB0_27:
	s_or_b64 exec, exec, s[2:3]
	v_lshlrev_b32_e32 v34, 1, v38
	v_mov_b32_e32 v35, 0
	v_lshlrev_b64 v[49:50], 3, v[34:35]
	v_mov_b32_e32 v66, s13
	v_add_co_u32_e64 v49, s[2:3], s12, v49
	v_addc_co_u32_e64 v50, s[2:3], v66, v50, s[2:3]
	global_load_dwordx4 v[49:52], v[49:50], off offset:2280
	v_lshlrev_b32_e32 v53, 1, v39
	v_mov_b32_e32 v54, v35
	v_lshlrev_b64 v[53:54], 3, v[53:54]
	v_lshlrev_b32_e32 v55, 1, v45
	v_mov_b32_e32 v56, v35
	v_lshlrev_b64 v[55:56], 3, v[55:56]
	v_add_co_u32_e64 v53, s[2:3], s12, v53
	v_add_u32_e32 v57, 0x144, v34
	v_mov_b32_e32 v58, v35
	v_addc_co_u32_e64 v54, s[2:3], v66, v54, s[2:3]
	v_lshlrev_b64 v[57:58], 3, v[57:58]
	v_add_co_u32_e64 v59, s[2:3], s12, v55
	v_add_u32_e32 v34, 0x1b0, v34
	v_addc_co_u32_e64 v60, s[2:3], v66, v56, s[2:3]
	global_load_dwordx4 v[53:56], v[53:54], off offset:2280
	v_lshlrev_b64 v[61:62], 3, v[34:35]
	v_add_co_u32_e64 v63, s[2:3], s12, v57
	v_addc_co_u32_e64 v64, s[2:3], v66, v58, s[2:3]
	global_load_dwordx4 v[57:60], v[59:60], off offset:2280
	v_add_co_u32_e64 v65, s[2:3], s12, v61
	v_addc_co_u32_e64 v66, s[2:3], v66, v62, s[2:3]
	global_load_dwordx4 v[61:64], v[63:64], off offset:2280
	s_waitcnt vmcnt(3) lgkmcnt(6)
	v_mul_f32_e32 v34, v50, v3
	v_mul_f32_e32 v39, v50, v2
	s_waitcnt lgkmcnt(5)
	v_mul_f32_e32 v45, v52, v25
	v_mul_f32_e32 v50, v52, v24
	v_fmac_f32_e32 v34, v49, v2
	v_fma_f32 v39, v49, v3, -v39
	v_fmac_f32_e32 v45, v51, v24
	v_fma_f32 v24, v51, v25, -v50
	global_load_dwordx4 v[49:52], v[65:66], off offset:2280
	s_waitcnt lgkmcnt(0)
	; wave barrier
	s_waitcnt vmcnt(3) lgkmcnt(0)
	v_mul_f32_e32 v25, v56, v27
	v_mul_f32_e32 v2, v56, v26
	v_fmac_f32_e32 v25, v55, v26
	v_fma_f32 v26, v55, v27, -v2
	v_mul_f32_e32 v27, v54, v21
	v_mul_f32_e32 v2, v54, v20
	s_waitcnt vmcnt(2)
	v_mul_f32_e32 v54, v58, v23
	v_mul_f32_e32 v3, v58, v22
	v_fmac_f32_e32 v27, v53, v20
	v_fma_f32 v20, v53, v21, -v2
	v_mul_f32_e32 v2, v60, v16
	s_waitcnt vmcnt(1)
	v_mul_f32_e32 v55, v62, v12
	v_fmac_f32_e32 v54, v57, v22
	v_fma_f32 v22, v57, v23, -v3
	v_mul_f32_e32 v3, v18, v64
	v_mul_f32_e32 v53, v62, v13
	v_fmac_f32_e32 v53, v61, v12
	v_add_f32_e32 v12, v9, v39
	v_mul_f32_e32 v21, v60, v17
	v_fmac_f32_e32 v21, v59, v16
	v_mul_f32_e32 v56, v19, v64
	v_fmac_f32_e32 v56, v18, v63
	v_sub_f32_e32 v18, v27, v25
	s_waitcnt vmcnt(0)
	v_mul_f32_e32 v57, v15, v50
	v_mul_f32_e32 v23, v14, v50
	v_fma_f32 v50, v59, v17, -v2
	v_mul_f32_e32 v58, v43, v52
	v_mul_f32_e32 v2, v42, v52
	v_fma_f32 v52, v61, v13, -v55
	v_fma_f32 v55, v19, v63, -v3
	v_add_f32_e32 v3, v34, v45
	v_fma_f32 v43, v43, v51, -v2
	v_add_f32_e32 v2, v8, v34
	v_fma_f32 v8, -0.5, v3, v8
	v_sub_f32_e32 v13, v39, v24
	v_add_f32_e32 v3, v12, v24
	v_mov_b32_e32 v12, v8
	v_fmac_f32_e32 v8, 0x3f5db3d7, v13
	v_fmac_f32_e32 v12, 0xbf5db3d7, v13
	v_add_f32_e32 v13, v39, v24
	v_fma_f32 v9, -0.5, v13, v9
	v_fmac_f32_e32 v57, v14, v49
	v_fma_f32 v49, v15, v49, -v23
	v_sub_f32_e32 v14, v34, v45
	v_mov_b32_e32 v13, v9
	v_add_f32_e32 v15, v27, v25
	v_fmac_f32_e32 v13, 0x3f5db3d7, v14
	v_fmac_f32_e32 v9, 0xbf5db3d7, v14
	v_add_f32_e32 v14, v10, v27
	v_fma_f32 v10, -0.5, v15, v10
	v_sub_f32_e32 v15, v20, v26
	v_mov_b32_e32 v16, v10
	v_add_f32_e32 v17, v20, v26
	v_fmac_f32_e32 v16, 0xbf5db3d7, v15
	v_fmac_f32_e32 v10, 0x3f5db3d7, v15
	v_add_f32_e32 v15, v11, v20
	v_fmac_f32_e32 v11, -0.5, v17
	v_mov_b32_e32 v17, v11
	v_add_f32_e32 v19, v54, v21
	v_fmac_f32_e32 v17, 0x3f5db3d7, v18
	v_fmac_f32_e32 v11, 0xbf5db3d7, v18
	v_add_f32_e32 v18, v4, v54
	v_fma_f32 v4, -0.5, v19, v4
	v_sub_f32_e32 v19, v22, v50
	v_mov_b32_e32 v20, v4
	v_fmac_f32_e32 v20, 0xbf5db3d7, v19
	v_fmac_f32_e32 v4, 0x3f5db3d7, v19
	v_add_f32_e32 v19, v5, v22
	v_add_f32_e32 v22, v22, v50
	v_fma_f32 v5, -0.5, v22, v5
	v_add_f32_e32 v18, v18, v21
	v_sub_f32_e32 v22, v54, v21
	v_mov_b32_e32 v21, v5
	v_add_f32_e32 v23, v53, v56
	v_fmac_f32_e32 v21, 0x3f5db3d7, v22
	v_fmac_f32_e32 v5, 0xbf5db3d7, v22
	v_add_f32_e32 v22, v6, v53
	v_fma_f32 v6, -0.5, v23, v6
	v_add_f32_e32 v14, v14, v25
	v_sub_f32_e32 v23, v52, v55
	v_mov_b32_e32 v24, v6
	v_add_f32_e32 v25, v52, v55
	v_fmac_f32_e32 v58, v42, v51
	v_fmac_f32_e32 v24, 0xbf5db3d7, v23
	;; [unrolled: 1-line block ×3, first 2 shown]
	v_add_f32_e32 v23, v7, v52
	v_fmac_f32_e32 v7, -0.5, v25
	v_add_f32_e32 v15, v15, v26
	v_sub_f32_e32 v26, v53, v56
	v_mov_b32_e32 v25, v7
	v_add_f32_e32 v27, v57, v58
	v_fmac_f32_e32 v25, 0x3f5db3d7, v26
	v_fmac_f32_e32 v7, 0xbf5db3d7, v26
	v_add_f32_e32 v26, v0, v57
	v_fma_f32 v0, -0.5, v27, v0
	v_sub_f32_e32 v27, v49, v43
	v_mov_b32_e32 v42, v0
	v_add_f32_e32 v34, v49, v43
	v_fmac_f32_e32 v42, 0xbf5db3d7, v27
	v_fmac_f32_e32 v0, 0x3f5db3d7, v27
	v_add_f32_e32 v27, v1, v49
	v_fmac_f32_e32 v1, -0.5, v34
	v_add_f32_e32 v2, v2, v45
	v_add_f32_e32 v27, v27, v43
	v_sub_f32_e32 v34, v57, v58
	v_mov_b32_e32 v43, v1
	v_add_f32_e32 v19, v19, v50
	v_add_f32_e32 v22, v22, v56
	;; [unrolled: 1-line block ×4, first 2 shown]
	v_fmac_f32_e32 v43, 0x3f5db3d7, v34
	v_fmac_f32_e32 v1, 0xbf5db3d7, v34
	ds_write2_b64 v44, v[2:3], v[14:15] offset1:54
	ds_write2_b64 v48, v[8:9], v[10:11] offset0:64 offset1:118
	ds_write2_b64 v46, v[16:17], v[20:21] offset0:86 offset1:140
	;; [unrolled: 1-line block ×6, first 2 shown]
	ds_write_b64 v44, v[0:1] offset:6336
	s_and_saveexec_b64 s[2:3], vcc
	s_cbranch_execz .LBB0_29
; %bb.28:
	v_not_b32_e32 v0, 17
	v_mov_b32_e32 v1, 0x10e
	v_cndmask_b32_e32 v0, v0, v1, vcc
	v_add_lshl_u32 v34, v38, v0, 1
	v_lshlrev_b64 v[0:1], 3, v[34:35]
	v_mov_b32_e32 v2, s13
	v_add_co_u32_e32 v0, vcc, s12, v0
	v_addc_co_u32_e32 v1, vcc, v2, v1, vcc
	global_load_dwordx4 v[0:3], v[0:1], off offset:2280
	s_waitcnt vmcnt(0)
	v_mul_f32_e32 v4, v28, v1
	v_mul_f32_e32 v5, v30, v3
	;; [unrolled: 1-line block ×4, first 2 shown]
	v_fma_f32 v3, v29, v0, -v4
	v_fma_f32 v4, v31, v2, -v5
	v_fmac_f32_e32 v1, v28, v0
	v_fmac_f32_e32 v6, v30, v2
	v_add_f32_e32 v0, v3, v4
	v_add_f32_e32 v5, v1, v6
	v_sub_f32_e32 v7, v1, v6
	v_add_f32_e32 v2, v33, v3
	v_sub_f32_e32 v8, v3, v4
	v_add_f32_e32 v9, v32, v1
	v_fma_f32 v1, -0.5, v0, v33
	v_fma_f32 v0, -0.5, v5, v32
	v_add_f32_e32 v3, v2, v4
	v_add_f32_e32 v2, v9, v6
	v_mov_b32_e32 v5, v1
	v_fmac_f32_e32 v1, 0x3f5db3d7, v7
	v_mov_b32_e32 v4, v0
	v_fmac_f32_e32 v0, 0xbf5db3d7, v8
	ds_write_b64 v44, v[2:3] offset:2160
	v_fmac_f32_e32 v5, 0xbf5db3d7, v7
	v_fmac_f32_e32 v4, 0x3f5db3d7, v8
	ds_write_b64 v44, v[0:1] offset:4464
	ds_write_b64 v44, v[4:5] offset:6768
.LBB0_29:
	s_or_b64 exec, exec, s[2:3]
	s_waitcnt lgkmcnt(0)
	; wave barrier
	s_waitcnt lgkmcnt(0)
	s_and_saveexec_b64 s[2:3], s[0:1]
	s_cbranch_execz .LBB0_31
; %bb.30:
	v_mul_lo_u32 v0, s5, v40
	v_mul_lo_u32 v1, s4, v41
	v_mad_u64_u32 v[4:5], s[0:1], s4, v40, 0
	v_mov_b32_e32 v7, s11
	v_lshl_add_u32 v6, v38, 3, 0
	v_add3_u32 v5, v5, v1, v0
	v_lshlrev_b64 v[4:5], 3, v[4:5]
	v_mov_b32_e32 v39, 0
	v_add_co_u32_e32 v8, vcc, s10, v4
	v_addc_co_u32_e32 v7, vcc, v7, v5, vcc
	v_lshlrev_b64 v[4:5], 3, v[36:37]
	ds_read2_b64 v[0:3], v6 offset1:54
	v_add_co_u32_e32 v8, vcc, v8, v4
	v_addc_co_u32_e32 v7, vcc, v7, v5, vcc
	v_lshlrev_b64 v[4:5], 3, v[38:39]
	v_add_u32_e32 v9, 0x800, v6
	v_add_co_u32_e32 v4, vcc, v8, v4
	v_addc_co_u32_e32 v5, vcc, v7, v5, vcc
	s_waitcnt lgkmcnt(0)
	global_store_dwordx2 v[4:5], v[0:1], off
	v_add_u32_e32 v0, 54, v38
	v_mov_b32_e32 v1, v39
	v_lshlrev_b64 v[0:1], 3, v[0:1]
	v_add_u32_e32 v4, 0x6c, v38
	v_add_co_u32_e32 v0, vcc, v8, v0
	v_addc_co_u32_e32 v1, vcc, v7, v1, vcc
	global_store_dwordx2 v[0:1], v[2:3], off
	v_mov_b32_e32 v5, v39
	ds_read2_b64 v[0:3], v6 offset0:108 offset1:162
	v_lshlrev_b64 v[4:5], 3, v[4:5]
	v_add_co_u32_e32 v4, vcc, v8, v4
	v_addc_co_u32_e32 v5, vcc, v7, v5, vcc
	s_waitcnt lgkmcnt(0)
	global_store_dwordx2 v[4:5], v[0:1], off
	v_add_u32_e32 v0, 0xa2, v38
	v_mov_b32_e32 v1, v39
	v_lshlrev_b64 v[0:1], 3, v[0:1]
	v_add_u32_e32 v4, 0xd8, v38
	v_add_co_u32_e32 v0, vcc, v8, v0
	v_addc_co_u32_e32 v1, vcc, v7, v1, vcc
	global_store_dwordx2 v[0:1], v[2:3], off
	v_add_u32_e32 v0, 0x400, v6
	v_mov_b32_e32 v5, v39
	ds_read2_b64 v[0:3], v0 offset0:88 offset1:142
	v_lshlrev_b64 v[4:5], 3, v[4:5]
	v_add_co_u32_e32 v4, vcc, v8, v4
	v_addc_co_u32_e32 v5, vcc, v7, v5, vcc
	s_waitcnt lgkmcnt(0)
	global_store_dwordx2 v[4:5], v[0:1], off
	v_add_u32_e32 v0, 0x10e, v38
	v_mov_b32_e32 v1, v39
	v_lshlrev_b64 v[0:1], 3, v[0:1]
	v_add_u32_e32 v4, 0x144, v38
	v_add_co_u32_e32 v0, vcc, v8, v0
	v_addc_co_u32_e32 v1, vcc, v7, v1, vcc
	global_store_dwordx2 v[0:1], v[2:3], off
	v_mov_b32_e32 v5, v39
	ds_read2_b64 v[0:3], v9 offset0:68 offset1:122
	v_lshlrev_b64 v[4:5], 3, v[4:5]
	v_add_co_u32_e32 v4, vcc, v8, v4
	v_addc_co_u32_e32 v5, vcc, v7, v5, vcc
	s_waitcnt lgkmcnt(0)
	global_store_dwordx2 v[4:5], v[0:1], off
	v_add_u32_e32 v0, 0x17a, v38
	v_mov_b32_e32 v1, v39
	v_lshlrev_b64 v[0:1], 3, v[0:1]
	v_add_u32_e32 v4, 0x1b0, v38
	v_add_co_u32_e32 v0, vcc, v8, v0
	v_addc_co_u32_e32 v1, vcc, v7, v1, vcc
	global_store_dwordx2 v[0:1], v[2:3], off
	v_mov_b32_e32 v5, v39
	ds_read2_b64 v[0:3], v9 offset0:176 offset1:230
	v_lshlrev_b64 v[4:5], 3, v[4:5]
	v_add_u32_e32 v9, 0x1000, v6
	v_add_co_u32_e32 v4, vcc, v8, v4
	v_addc_co_u32_e32 v5, vcc, v7, v5, vcc
	s_waitcnt lgkmcnt(0)
	global_store_dwordx2 v[4:5], v[0:1], off
	v_add_u32_e32 v0, 0x1e6, v38
	v_mov_b32_e32 v1, v39
	v_lshlrev_b64 v[0:1], 3, v[0:1]
	v_add_u32_e32 v4, 0x21c, v38
	v_add_co_u32_e32 v0, vcc, v8, v0
	v_addc_co_u32_e32 v1, vcc, v7, v1, vcc
	global_store_dwordx2 v[0:1], v[2:3], off
	v_mov_b32_e32 v5, v39
	ds_read2_b64 v[0:3], v9 offset0:28 offset1:82
	v_lshlrev_b64 v[4:5], 3, v[4:5]
	v_add_co_u32_e32 v4, vcc, v8, v4
	v_addc_co_u32_e32 v5, vcc, v7, v5, vcc
	s_waitcnt lgkmcnt(0)
	global_store_dwordx2 v[4:5], v[0:1], off
	v_add_u32_e32 v0, 0x252, v38
	v_mov_b32_e32 v1, v39
	v_lshlrev_b64 v[0:1], 3, v[0:1]
	v_add_u32_e32 v4, 0x288, v38
	v_add_co_u32_e32 v0, vcc, v8, v0
	v_addc_co_u32_e32 v1, vcc, v7, v1, vcc
	global_store_dwordx2 v[0:1], v[2:3], off
	v_mov_b32_e32 v5, v39
	ds_read2_b64 v[0:3], v9 offset0:136 offset1:190
	v_lshlrev_b64 v[4:5], 3, v[4:5]
	v_add_co_u32_e32 v4, vcc, v8, v4
	v_addc_co_u32_e32 v5, vcc, v7, v5, vcc
	s_waitcnt lgkmcnt(0)
	global_store_dwordx2 v[4:5], v[0:1], off
	v_add_u32_e32 v0, 0x2be, v38
	v_mov_b32_e32 v1, v39
	v_lshlrev_b64 v[0:1], 3, v[0:1]
	v_add_u32_e32 v4, 0x2f4, v38
	v_add_co_u32_e32 v0, vcc, v8, v0
	v_addc_co_u32_e32 v1, vcc, v7, v1, vcc
	global_store_dwordx2 v[0:1], v[2:3], off
	v_add_u32_e32 v0, 0x1400, v6
	v_mov_b32_e32 v5, v39
	ds_read2_b64 v[0:3], v0 offset0:116 offset1:170
	v_lshlrev_b64 v[4:5], 3, v[4:5]
	v_add_u32_e32 v38, 0x32a, v38
	v_add_co_u32_e32 v4, vcc, v8, v4
	v_addc_co_u32_e32 v5, vcc, v7, v5, vcc
	s_waitcnt lgkmcnt(0)
	global_store_dwordx2 v[4:5], v[0:1], off
	v_lshlrev_b64 v[0:1], 3, v[38:39]
	v_add_co_u32_e32 v0, vcc, v8, v0
	v_addc_co_u32_e32 v1, vcc, v7, v1, vcc
	global_store_dwordx2 v[0:1], v[2:3], off
.LBB0_31:
	s_endpgm
	.section	.rodata,"a",@progbits
	.p2align	6, 0x0
	.amdhsa_kernel fft_rtc_back_len864_factors_3_6_16_3_wgs_54_tpt_54_halfLds_sp_op_CI_CI_unitstride_sbrr_C2R_dirReg
		.amdhsa_group_segment_fixed_size 0
		.amdhsa_private_segment_fixed_size 0
		.amdhsa_kernarg_size 104
		.amdhsa_user_sgpr_count 6
		.amdhsa_user_sgpr_private_segment_buffer 1
		.amdhsa_user_sgpr_dispatch_ptr 0
		.amdhsa_user_sgpr_queue_ptr 0
		.amdhsa_user_sgpr_kernarg_segment_ptr 1
		.amdhsa_user_sgpr_dispatch_id 0
		.amdhsa_user_sgpr_flat_scratch_init 0
		.amdhsa_user_sgpr_private_segment_size 0
		.amdhsa_uses_dynamic_stack 0
		.amdhsa_system_sgpr_private_segment_wavefront_offset 0
		.amdhsa_system_sgpr_workgroup_id_x 1
		.amdhsa_system_sgpr_workgroup_id_y 0
		.amdhsa_system_sgpr_workgroup_id_z 0
		.amdhsa_system_sgpr_workgroup_info 0
		.amdhsa_system_vgpr_workitem_id 0
		.amdhsa_next_free_vgpr 67
		.amdhsa_next_free_sgpr 28
		.amdhsa_reserve_vcc 1
		.amdhsa_reserve_flat_scratch 0
		.amdhsa_float_round_mode_32 0
		.amdhsa_float_round_mode_16_64 0
		.amdhsa_float_denorm_mode_32 3
		.amdhsa_float_denorm_mode_16_64 3
		.amdhsa_dx10_clamp 1
		.amdhsa_ieee_mode 1
		.amdhsa_fp16_overflow 0
		.amdhsa_exception_fp_ieee_invalid_op 0
		.amdhsa_exception_fp_denorm_src 0
		.amdhsa_exception_fp_ieee_div_zero 0
		.amdhsa_exception_fp_ieee_overflow 0
		.amdhsa_exception_fp_ieee_underflow 0
		.amdhsa_exception_fp_ieee_inexact 0
		.amdhsa_exception_int_div_zero 0
	.end_amdhsa_kernel
	.text
.Lfunc_end0:
	.size	fft_rtc_back_len864_factors_3_6_16_3_wgs_54_tpt_54_halfLds_sp_op_CI_CI_unitstride_sbrr_C2R_dirReg, .Lfunc_end0-fft_rtc_back_len864_factors_3_6_16_3_wgs_54_tpt_54_halfLds_sp_op_CI_CI_unitstride_sbrr_C2R_dirReg
                                        ; -- End function
	.section	.AMDGPU.csdata,"",@progbits
; Kernel info:
; codeLenInByte = 8956
; NumSgprs: 32
; NumVgprs: 67
; ScratchSize: 0
; MemoryBound: 0
; FloatMode: 240
; IeeeMode: 1
; LDSByteSize: 0 bytes/workgroup (compile time only)
; SGPRBlocks: 3
; VGPRBlocks: 16
; NumSGPRsForWavesPerEU: 32
; NumVGPRsForWavesPerEU: 67
; Occupancy: 3
; WaveLimiterHint : 1
; COMPUTE_PGM_RSRC2:SCRATCH_EN: 0
; COMPUTE_PGM_RSRC2:USER_SGPR: 6
; COMPUTE_PGM_RSRC2:TRAP_HANDLER: 0
; COMPUTE_PGM_RSRC2:TGID_X_EN: 1
; COMPUTE_PGM_RSRC2:TGID_Y_EN: 0
; COMPUTE_PGM_RSRC2:TGID_Z_EN: 0
; COMPUTE_PGM_RSRC2:TIDIG_COMP_CNT: 0
	.type	__hip_cuid_37badc179157c557,@object ; @__hip_cuid_37badc179157c557
	.section	.bss,"aw",@nobits
	.globl	__hip_cuid_37badc179157c557
__hip_cuid_37badc179157c557:
	.byte	0                               ; 0x0
	.size	__hip_cuid_37badc179157c557, 1

	.ident	"AMD clang version 19.0.0git (https://github.com/RadeonOpenCompute/llvm-project roc-6.4.0 25133 c7fe45cf4b819c5991fe208aaa96edf142730f1d)"
	.section	".note.GNU-stack","",@progbits
	.addrsig
	.addrsig_sym __hip_cuid_37badc179157c557
	.amdgpu_metadata
---
amdhsa.kernels:
  - .args:
      - .actual_access:  read_only
        .address_space:  global
        .offset:         0
        .size:           8
        .value_kind:     global_buffer
      - .offset:         8
        .size:           8
        .value_kind:     by_value
      - .actual_access:  read_only
        .address_space:  global
        .offset:         16
        .size:           8
        .value_kind:     global_buffer
      - .actual_access:  read_only
        .address_space:  global
        .offset:         24
        .size:           8
        .value_kind:     global_buffer
      - .actual_access:  read_only
        .address_space:  global
        .offset:         32
        .size:           8
        .value_kind:     global_buffer
      - .offset:         40
        .size:           8
        .value_kind:     by_value
      - .actual_access:  read_only
        .address_space:  global
        .offset:         48
        .size:           8
        .value_kind:     global_buffer
      - .actual_access:  read_only
        .address_space:  global
        .offset:         56
        .size:           8
        .value_kind:     global_buffer
      - .offset:         64
        .size:           4
        .value_kind:     by_value
      - .actual_access:  read_only
        .address_space:  global
        .offset:         72
        .size:           8
        .value_kind:     global_buffer
      - .actual_access:  read_only
        .address_space:  global
        .offset:         80
        .size:           8
        .value_kind:     global_buffer
      - .actual_access:  read_only
        .address_space:  global
        .offset:         88
        .size:           8
        .value_kind:     global_buffer
      - .actual_access:  write_only
        .address_space:  global
        .offset:         96
        .size:           8
        .value_kind:     global_buffer
    .group_segment_fixed_size: 0
    .kernarg_segment_align: 8
    .kernarg_segment_size: 104
    .language:       OpenCL C
    .language_version:
      - 2
      - 0
    .max_flat_workgroup_size: 54
    .name:           fft_rtc_back_len864_factors_3_6_16_3_wgs_54_tpt_54_halfLds_sp_op_CI_CI_unitstride_sbrr_C2R_dirReg
    .private_segment_fixed_size: 0
    .sgpr_count:     32
    .sgpr_spill_count: 0
    .symbol:         fft_rtc_back_len864_factors_3_6_16_3_wgs_54_tpt_54_halfLds_sp_op_CI_CI_unitstride_sbrr_C2R_dirReg.kd
    .uniform_work_group_size: 1
    .uses_dynamic_stack: false
    .vgpr_count:     67
    .vgpr_spill_count: 0
    .wavefront_size: 64
amdhsa.target:   amdgcn-amd-amdhsa--gfx906
amdhsa.version:
  - 1
  - 2
...

	.end_amdgpu_metadata
